;; amdgpu-corpus repo=ROCm/rocFFT kind=compiled arch=gfx950 opt=O3
	.text
	.amdgcn_target "amdgcn-amd-amdhsa--gfx950"
	.amdhsa_code_object_version 6
	.protected	bluestein_single_fwd_len16_dim1_half_op_CI_CI ; -- Begin function bluestein_single_fwd_len16_dim1_half_op_CI_CI
	.globl	bluestein_single_fwd_len16_dim1_half_op_CI_CI
	.p2align	8
	.type	bluestein_single_fwd_len16_dim1_half_op_CI_CI,@function
bluestein_single_fwd_len16_dim1_half_op_CI_CI: ; @bluestein_single_fwd_len16_dim1_half_op_CI_CI
; %bb.0:
	s_load_dwordx4 s[12:15], s[0:1], 0x28
	v_lshrrev_b32_e32 v1, 2, v0
	v_lshl_or_b32 v4, s2, 4, v1
	v_mov_b32_e32 v5, 0
	s_waitcnt lgkmcnt(0)
	v_cmp_gt_u64_e32 vcc, s[12:13], v[4:5]
	s_and_saveexec_b64 s[2:3], vcc
	s_cbranch_execz .LBB0_2
; %bb.1:
	s_load_dwordx4 s[4:7], s[0:1], 0x18
	s_load_dwordx4 s[8:11], s[0:1], 0x0
	v_mov_b32_e32 v2, s14
	v_mov_b32_e32 v3, s15
	v_and_b32_e32 v17, 3, v0
	s_waitcnt lgkmcnt(0)
	s_load_dwordx4 s[12:15], s[4:5], 0x0
	s_add_u32 s2, s8, 64
	s_addc_u32 s3, s9, 0
	v_lshlrev_b32_e32 v5, 2, v17
	global_load_dword v20, v5, s[8:9]
	s_waitcnt lgkmcnt(0)
	v_mad_u64_u32 v[6:7], s[4:5], s14, v4, 0
	v_mov_b32_e32 v0, v7
	v_mad_u64_u32 v[8:9], s[4:5], s15, v4, v[0:1]
	v_mov_b32_e32 v7, v8
	v_mad_u64_u32 v[8:9], s[4:5], s12, v17, 0
	v_mov_b32_e32 v0, v9
	v_mad_u64_u32 v[10:11], s[4:5], s13, v17, v[0:1]
	v_mov_b32_e32 v9, v10
	v_lshl_add_u64 v[2:3], v[6:7], 2, v[2:3]
	v_lshl_add_u64 v[2:3], v[8:9], 2, v[2:3]
	s_lshl_b64 s[4:5], s[12:13], 4
	global_load_dword v0, v[2:3], off
	v_lshl_add_u64 v[2:3], v[2:3], 0, s[4:5]
	global_load_dword v6, v[2:3], off
	global_load_dword v21, v5, s[8:9] offset:16
	v_lshl_add_u64 v[2:3], v[2:3], 0, s[4:5]
	global_load_dword v7, v[2:3], off
	global_load_dword v22, v5, s[8:9] offset:32
	;; [unrolled: 3-line block ×3, first 2 shown]
	v_lshlrev_b32_e32 v1, 4, v1
	v_or_b32_e32 v2, v1, v17
	v_or_b32_e32 v1, v5, v1
	v_lshlrev_b32_e32 v24, 2, v2
	v_lshlrev_b32_e32 v25, 2, v1
	s_load_dwordx4 s[4:7], s[6:7], 0x0
	s_waitcnt vmcnt(6)
	v_lshrrev_b32_e32 v1, 16, v0
	v_mul_f16_sdwa v2, v20, v0 dst_sel:DWORD dst_unused:UNUSED_PAD src0_sel:WORD_1 src1_sel:DWORD
	v_mul_f16_sdwa v3, v20, v1 dst_sel:DWORD dst_unused:UNUSED_PAD src0_sel:WORD_1 src1_sel:DWORD
	v_fma_f16 v1, v20, v1, -v2
	s_waitcnt vmcnt(5)
	v_lshrrev_b32_e32 v2, 16, v6
	s_waitcnt vmcnt(4)
	v_mul_f16_sdwa v9, v21, v6 dst_sel:DWORD dst_unused:UNUSED_PAD src0_sel:WORD_1 src1_sel:DWORD
	v_fma_f16 v0, v20, v0, v3
	v_mul_f16_sdwa v3, v21, v2 dst_sel:DWORD dst_unused:UNUSED_PAD src0_sel:WORD_1 src1_sel:DWORD
	v_fma_f16 v2, v21, v2, -v9
	s_waitcnt vmcnt(3)
	v_lshrrev_b32_e32 v9, 16, v7
	s_waitcnt vmcnt(2)
	v_mul_f16_sdwa v10, v22, v7 dst_sel:DWORD dst_unused:UNUSED_PAD src0_sel:WORD_1 src1_sel:DWORD
	v_pack_b32_f16 v0, v0, v1
	v_fma_f16 v1, v21, v6, v3
	v_mul_f16_sdwa v3, v22, v9 dst_sel:DWORD dst_unused:UNUSED_PAD src0_sel:WORD_1 src1_sel:DWORD
	v_fma_f16 v6, v22, v9, -v10
	s_waitcnt vmcnt(1)
	v_lshrrev_b32_e32 v9, 16, v8
	s_waitcnt vmcnt(0)
	v_mul_f16_sdwa v10, v23, v8 dst_sel:DWORD dst_unused:UNUSED_PAD src0_sel:WORD_1 src1_sel:DWORD
	v_pack_b32_f16 v1, v1, v2
	v_fma_f16 v2, v22, v7, v3
	v_mul_f16_sdwa v3, v23, v9 dst_sel:DWORD dst_unused:UNUSED_PAD src0_sel:WORD_1 src1_sel:DWORD
	v_fma_f16 v7, v23, v9, -v10
	ds_write2_b32 v24, v0, v1 offset1:4
	v_fma_f16 v1, v23, v8, v3
	v_pack_b32_f16 v0, v2, v6
	v_pack_b32_f16 v1, v1, v7
	ds_write2_b32 v24, v0, v1 offset0:8 offset1:12
	s_waitcnt lgkmcnt(0)
	; wave barrier
	s_waitcnt lgkmcnt(0)
	ds_read2_b32 v[0:1], v24 offset1:4
	ds_read2_b32 v[2:3], v24 offset0:8 offset1:12
	v_mad_u64_u32 v[6:7], s[10:11], v17, 12, s[10:11]
	s_waitcnt lgkmcnt(0)
	; wave barrier
	s_waitcnt lgkmcnt(0)
	v_pk_add_f16 v8, v0, v2 neg_lo:[0,1] neg_hi:[0,1]
	v_pk_add_f16 v3, v1, v3 neg_lo:[0,1] neg_hi:[0,1]
	v_pk_fma_f16 v0, v0, 2.0, v8 op_sel_hi:[1,0,1] neg_lo:[0,0,1] neg_hi:[0,0,1]
	v_pk_fma_f16 v1, v1, 2.0, v3 op_sel_hi:[1,0,1] neg_lo:[0,0,1] neg_hi:[0,0,1]
	v_lshrrev_b32_e32 v10, 16, v8
	v_pk_add_f16 v2, v0, v1 neg_lo:[0,1] neg_hi:[0,1]
	v_sub_f16_sdwa v9, v8, v3 dst_sel:DWORD dst_unused:UNUSED_PAD src0_sel:DWORD src1_sel:WORD_1
	v_lshrrev_b32_e32 v1, 16, v0
	v_add_f16_e32 v3, v10, v3
	v_lshrrev_b32_e32 v11, 16, v2
	v_fma_f16 v8, v8, 2.0, -v9
	v_fma_f16 v0, v0, 2.0, -v2
	;; [unrolled: 1-line block ×3, first 2 shown]
	v_pack_b32_f16 v3, v9, v3
	v_fma_f16 v9, v1, 2.0, -v11
	v_pack_b32_f16 v1, v8, v10
	v_pack_b32_f16 v0, v0, v9
	ds_write_b128 v25, v[0:3]
	s_waitcnt lgkmcnt(0)
	; wave barrier
	s_waitcnt lgkmcnt(0)
	global_load_dwordx3 v[0:2], v[6:7], off
	ds_read2_b32 v[6:7], v24 offset1:4
	ds_read2_b32 v[8:9], v24 offset0:8 offset1:12
	s_load_dwordx2 s[0:1], s[0:1], 0x38
	s_waitcnt lgkmcnt(0)
	v_lshrrev_b32_e32 v10, 16, v7
	v_lshrrev_b32_e32 v11, 16, v8
	;; [unrolled: 1-line block ×4, first 2 shown]
	s_waitcnt vmcnt(0)
	v_mul_f16_sdwa v13, v10, v0 dst_sel:DWORD dst_unused:UNUSED_PAD src0_sel:DWORD src1_sel:WORD_1
	v_mul_f16_sdwa v14, v7, v0 dst_sel:DWORD dst_unused:UNUSED_PAD src0_sel:DWORD src1_sel:WORD_1
	v_mul_f16_sdwa v15, v11, v1 dst_sel:DWORD dst_unused:UNUSED_PAD src0_sel:DWORD src1_sel:WORD_1
	v_mul_f16_sdwa v16, v8, v1 dst_sel:DWORD dst_unused:UNUSED_PAD src0_sel:DWORD src1_sel:WORD_1
	v_mul_f16_sdwa v18, v12, v2 dst_sel:DWORD dst_unused:UNUSED_PAD src0_sel:DWORD src1_sel:WORD_1
	v_mul_f16_sdwa v19, v9, v2 dst_sel:DWORD dst_unused:UNUSED_PAD src0_sel:DWORD src1_sel:WORD_1
	v_fma_f16 v7, v7, v0, -v13
	v_fma_f16 v10, v10, v0, v14
	v_fma_f16 v8, v8, v1, -v15
	v_fma_f16 v11, v11, v1, v16
	;; [unrolled: 2-line block ×3, first 2 shown]
	v_sub_f16_e32 v8, v6, v8
	v_sub_f16_e32 v11, v3, v11
	;; [unrolled: 1-line block ×4, first 2 shown]
	v_fma_f16 v6, v6, 2.0, -v8
	v_fma_f16 v3, v3, 2.0, -v11
	;; [unrolled: 1-line block ×4, first 2 shown]
	v_sub_f16_e32 v12, v8, v12
	v_add_f16_e32 v9, v11, v9
	v_sub_f16_e32 v7, v6, v7
	v_sub_f16_e32 v10, v3, v10
	v_fma_f16 v8, v8, 2.0, -v12
	v_fma_f16 v11, v11, 2.0, -v9
	;; [unrolled: 1-line block ×4, first 2 shown]
	v_pack_b32_f16 v8, v8, v11
	v_pack_b32_f16 v7, v7, v10
	;; [unrolled: 1-line block ×4, first 2 shown]
	ds_write2_b32 v24, v3, v8 offset1:4
	ds_write2_b32 v24, v7, v9 offset0:8 offset1:12
	s_waitcnt lgkmcnt(0)
	; wave barrier
	s_waitcnt lgkmcnt(0)
	global_load_dword v3, v5, s[8:9] offset:64
	global_load_dword v7, v5, s[2:3] offset:16
	;; [unrolled: 1-line block ×4, first 2 shown]
	ds_read2_b32 v[14:15], v24 offset1:4
	ds_read2_b32 v[18:19], v24 offset0:8 offset1:12
	v_mov_b32_e32 v8, s0
	v_mov_b32_e32 v9, s1
	v_mad_u64_u32 v[10:11], s[0:1], s6, v4, 0
	v_mov_b32_e32 v6, v11
	v_mad_u64_u32 v[12:13], s[0:1], s4, v17, 0
	v_mov_b32_e32 v16, v13
	s_waitcnt lgkmcnt(0)
	v_lshrrev_b32_e32 v11, 16, v18
	v_lshrrev_b32_e32 v13, 16, v19
	v_mad_u64_u32 v[16:17], s[2:3], s5, v17, v[16:17]
	s_movk_i32 s8, 0x2c00
	s_lshl_b64 s[0:1], s[4:5], 4
	s_waitcnt vmcnt(3)
	v_mul_f16_sdwa v29, v14, v3 dst_sel:DWORD dst_unused:UNUSED_PAD src0_sel:DWORD src1_sel:WORD_1
	s_waitcnt vmcnt(2)
	v_mad_u64_u32 v[4:5], s[2:3], s7, v4, v[6:7]
	v_lshrrev_b32_e32 v5, 16, v14
	v_lshrrev_b32_e32 v6, 16, v15
	v_mul_f16_sdwa v28, v5, v3 dst_sel:DWORD dst_unused:UNUSED_PAD src0_sel:DWORD src1_sel:WORD_1
	v_mul_f16_sdwa v30, v6, v7 dst_sel:DWORD dst_unused:UNUSED_PAD src0_sel:DWORD src1_sel:WORD_1
	;; [unrolled: 1-line block ×3, first 2 shown]
	s_waitcnt vmcnt(1)
	v_mul_f16_sdwa v32, v11, v26 dst_sel:DWORD dst_unused:UNUSED_PAD src0_sel:DWORD src1_sel:WORD_1
	v_mul_f16_sdwa v33, v18, v26 dst_sel:DWORD dst_unused:UNUSED_PAD src0_sel:DWORD src1_sel:WORD_1
	s_waitcnt vmcnt(0)
	v_mul_f16_sdwa v34, v13, v27 dst_sel:DWORD dst_unused:UNUSED_PAD src0_sel:DWORD src1_sel:WORD_1
	v_mul_f16_sdwa v35, v19, v27 dst_sel:DWORD dst_unused:UNUSED_PAD src0_sel:DWORD src1_sel:WORD_1
	v_fma_f16 v14, v14, v3, -v28
	v_fma_f16 v3, v5, v3, v29
	v_fma_f16 v5, v15, v7, -v30
	v_fma_f16 v6, v6, v7, v31
	;; [unrolled: 2-line block ×4, first 2 shown]
	v_pack_b32_f16 v3, v14, v3
	v_pack_b32_f16 v5, v5, v6
	;; [unrolled: 1-line block ×4, first 2 shown]
	ds_write2_b32 v24, v3, v5 offset1:4
	ds_write2_b32 v24, v6, v7 offset0:8 offset1:12
	s_waitcnt lgkmcnt(0)
	; wave barrier
	s_waitcnt lgkmcnt(0)
	ds_read2_b32 v[6:7], v24 offset1:4
	ds_read2_b32 v[14:15], v24 offset0:8 offset1:12
	v_mov_b32_e32 v11, v4
	s_waitcnt lgkmcnt(0)
	; wave barrier
	s_waitcnt lgkmcnt(0)
	v_lshl_add_u64 v[8:9], v[10:11], 2, v[8:9]
	v_pk_add_f16 v3, v6, v14 neg_lo:[0,1] neg_hi:[0,1]
	v_pk_add_f16 v4, v7, v15 neg_lo:[0,1] neg_hi:[0,1]
	v_pk_fma_f16 v5, v6, 2.0, v3 op_sel_hi:[1,0,1] neg_lo:[0,0,1] neg_hi:[0,0,1]
	v_pk_fma_f16 v6, v7, 2.0, v4 op_sel_hi:[1,0,1] neg_lo:[0,0,1] neg_hi:[0,0,1]
	v_lshrrev_b32_e32 v13, 16, v3
	v_add_f16_sdwa v7, v3, v4 dst_sel:DWORD dst_unused:UNUSED_PAD src0_sel:DWORD src1_sel:WORD_1
	v_pk_add_f16 v6, v5, v6 neg_lo:[0,1] neg_hi:[0,1]
	v_sub_f16_e32 v14, v13, v4
	v_fma_f16 v3, v3, 2.0, -v7
	v_pk_fma_f16 v4, v5, 2.0, v6 op_sel_hi:[1,0,1] neg_lo:[0,0,1] neg_hi:[0,0,1]
	v_fma_f16 v5, v13, 2.0, -v14
	v_pack_b32_f16 v7, v7, v14
	v_pack_b32_f16 v5, v3, v5
	ds_write_b128 v25, v[4:7]
	s_waitcnt lgkmcnt(0)
	; wave barrier
	s_waitcnt lgkmcnt(0)
	ds_read2_b32 v[4:5], v24 offset1:4
	ds_read2_b32 v[6:7], v24 offset0:8 offset1:12
	v_mov_b32_e32 v13, v16
	v_lshl_add_u64 v[8:9], v[12:13], 2, v[8:9]
	s_waitcnt lgkmcnt(1)
	v_lshrrev_b32_e32 v10, 16, v5
	s_waitcnt lgkmcnt(0)
	v_lshrrev_b32_e32 v11, 16, v6
	v_lshrrev_b32_e32 v12, 16, v7
	v_mul_f16_sdwa v13, v0, v5 dst_sel:DWORD dst_unused:UNUSED_PAD src0_sel:WORD_1 src1_sel:DWORD
	v_mul_f16_sdwa v14, v1, v6 dst_sel:DWORD dst_unused:UNUSED_PAD src0_sel:WORD_1 src1_sel:DWORD
	;; [unrolled: 1-line block ×4, first 2 shown]
	v_fma_f16 v10, v0, v10, -v13
	v_mul_f16_sdwa v13, v1, v11 dst_sel:DWORD dst_unused:UNUSED_PAD src0_sel:WORD_1 src1_sel:DWORD
	v_fma_f16 v11, v1, v11, -v14
	v_mul_f16_sdwa v14, v2, v12 dst_sel:DWORD dst_unused:UNUSED_PAD src0_sel:WORD_1 src1_sel:DWORD
	v_lshrrev_b32_e32 v3, 16, v4
	v_fma_f16 v12, v2, v12, -v15
	v_fma_f16 v0, v0, v5, v16
	v_fma_f16 v1, v1, v6, v13
	;; [unrolled: 1-line block ×3, first 2 shown]
	v_sub_f16_e32 v5, v3, v11
	v_sub_f16_e32 v6, v10, v12
	v_sub_f16_e32 v1, v4, v1
	v_sub_f16_e32 v2, v0, v2
	v_fma_f16 v3, v3, 2.0, -v5
	v_fma_f16 v7, v10, 2.0, -v6
	;; [unrolled: 1-line block ×4, first 2 shown]
	v_sub_f16_e32 v7, v3, v7
	v_add_f16_e32 v6, v1, v6
	v_sub_f16_e32 v2, v5, v2
	v_sub_f16_e32 v0, v4, v0
	v_fma_f16 v3, v3, 2.0, -v7
	v_fma_f16 v1, v1, 2.0, -v6
	v_fma_f16 v5, v5, 2.0, -v2
	v_fma_f16 v4, v4, 2.0, -v0
	v_pack_b32_f16 v1, v1, v5
	v_pack_b32_f16 v0, v0, v7
	;; [unrolled: 1-line block ×4, first 2 shown]
	ds_write2_b32 v24, v3, v1 offset1:4
	ds_write2_b32 v24, v0, v2 offset0:8 offset1:12
	s_waitcnt lgkmcnt(0)
	; wave barrier
	s_waitcnt lgkmcnt(0)
	ds_read2_b32 v[0:1], v24 offset1:4
	ds_read2_b32 v[10:11], v24 offset0:8 offset1:12
	v_lshl_add_u64 v[2:3], v[8:9], 0, s[0:1]
	v_lshl_add_u64 v[4:5], v[2:3], 0, s[0:1]
	v_lshl_add_u64 v[6:7], v[4:5], 0, s[0:1]
	s_waitcnt lgkmcnt(1)
	v_lshrrev_b32_e32 v12, 16, v0
	v_mul_f16_sdwa v13, v20, v0 dst_sel:DWORD dst_unused:UNUSED_PAD src0_sel:WORD_1 src1_sel:DWORD
	v_lshrrev_b32_e32 v14, 16, v1
	v_mul_f16_sdwa v15, v21, v1 dst_sel:DWORD dst_unused:UNUSED_PAD src0_sel:WORD_1 src1_sel:DWORD
	s_waitcnt lgkmcnt(0)
	v_lshrrev_b32_e32 v16, 16, v10
	v_mul_f16_sdwa v17, v22, v10 dst_sel:DWORD dst_unused:UNUSED_PAD src0_sel:WORD_1 src1_sel:DWORD
	v_lshrrev_b32_e32 v18, 16, v11
	v_mul_f16_sdwa v24, v20, v12 dst_sel:DWORD dst_unused:UNUSED_PAD src0_sel:WORD_1 src1_sel:DWORD
	v_mul_f16_sdwa v19, v23, v11 dst_sel:DWORD dst_unused:UNUSED_PAD src0_sel:WORD_1 src1_sel:DWORD
	v_fma_f16 v12, v20, v12, -v13
	v_mul_f16_sdwa v13, v21, v14 dst_sel:DWORD dst_unused:UNUSED_PAD src0_sel:WORD_1 src1_sel:DWORD
	v_fma_f16 v14, v21, v14, -v15
	;; [unrolled: 2-line block ×3, first 2 shown]
	v_mul_f16_sdwa v17, v23, v18 dst_sel:DWORD dst_unused:UNUSED_PAD src0_sel:WORD_1 src1_sel:DWORD
	v_fma_f16 v0, v20, v0, v24
	v_fma_f16 v18, v23, v18, -v19
	v_mul_f16_sdwa v12, v12, s8 dst_sel:WORD_1 dst_unused:UNUSED_PAD src0_sel:DWORD src1_sel:DWORD
	v_fma_f16 v1, v21, v1, v13
	v_fma_f16 v10, v22, v10, v15
	;; [unrolled: 1-line block ×3, first 2 shown]
	v_mul_f16_e32 v0, 0x2c00, v0
	v_mul_f16_sdwa v13, v14, s8 dst_sel:WORD_1 dst_unused:UNUSED_PAD src0_sel:DWORD src1_sel:DWORD
	v_mul_f16_sdwa v14, v16, s8 dst_sel:WORD_1 dst_unused:UNUSED_PAD src0_sel:DWORD src1_sel:DWORD
	;; [unrolled: 1-line block ×3, first 2 shown]
	v_mul_f16_e32 v1, 0x2c00, v1
	v_mul_f16_e32 v10, 0x2c00, v10
	;; [unrolled: 1-line block ×3, first 2 shown]
	v_or_b32_e32 v0, v12, v0
	v_or_b32_e32 v1, v13, v1
	v_or_b32_e32 v10, v14, v10
	v_or_b32_e32 v11, v15, v11
	global_store_dword v[8:9], v0, off
	global_store_dword v[2:3], v1, off
	;; [unrolled: 1-line block ×4, first 2 shown]
.LBB0_2:
	s_endpgm
	.section	.rodata,"a",@progbits
	.p2align	6, 0x0
	.amdhsa_kernel bluestein_single_fwd_len16_dim1_half_op_CI_CI
		.amdhsa_group_segment_fixed_size 1024
		.amdhsa_private_segment_fixed_size 0
		.amdhsa_kernarg_size 104
		.amdhsa_user_sgpr_count 2
		.amdhsa_user_sgpr_dispatch_ptr 0
		.amdhsa_user_sgpr_queue_ptr 0
		.amdhsa_user_sgpr_kernarg_segment_ptr 1
		.amdhsa_user_sgpr_dispatch_id 0
		.amdhsa_user_sgpr_kernarg_preload_length 0
		.amdhsa_user_sgpr_kernarg_preload_offset 0
		.amdhsa_user_sgpr_private_segment_size 0
		.amdhsa_uses_dynamic_stack 0
		.amdhsa_enable_private_segment 0
		.amdhsa_system_sgpr_workgroup_id_x 1
		.amdhsa_system_sgpr_workgroup_id_y 0
		.amdhsa_system_sgpr_workgroup_id_z 0
		.amdhsa_system_sgpr_workgroup_info 0
		.amdhsa_system_vgpr_workitem_id 0
		.amdhsa_next_free_vgpr 36
		.amdhsa_next_free_sgpr 16
		.amdhsa_accum_offset 36
		.amdhsa_reserve_vcc 1
		.amdhsa_float_round_mode_32 0
		.amdhsa_float_round_mode_16_64 0
		.amdhsa_float_denorm_mode_32 3
		.amdhsa_float_denorm_mode_16_64 3
		.amdhsa_dx10_clamp 1
		.amdhsa_ieee_mode 1
		.amdhsa_fp16_overflow 0
		.amdhsa_tg_split 0
		.amdhsa_exception_fp_ieee_invalid_op 0
		.amdhsa_exception_fp_denorm_src 0
		.amdhsa_exception_fp_ieee_div_zero 0
		.amdhsa_exception_fp_ieee_overflow 0
		.amdhsa_exception_fp_ieee_underflow 0
		.amdhsa_exception_fp_ieee_inexact 0
		.amdhsa_exception_int_div_zero 0
	.end_amdhsa_kernel
	.text
.Lfunc_end0:
	.size	bluestein_single_fwd_len16_dim1_half_op_CI_CI, .Lfunc_end0-bluestein_single_fwd_len16_dim1_half_op_CI_CI
                                        ; -- End function
	.section	.AMDGPU.csdata,"",@progbits
; Kernel info:
; codeLenInByte = 2060
; NumSgprs: 22
; NumVgprs: 36
; NumAgprs: 0
; TotalNumVgprs: 36
; ScratchSize: 0
; MemoryBound: 0
; FloatMode: 240
; IeeeMode: 1
; LDSByteSize: 1024 bytes/workgroup (compile time only)
; SGPRBlocks: 2
; VGPRBlocks: 4
; NumSGPRsForWavesPerEU: 22
; NumVGPRsForWavesPerEU: 36
; AccumOffset: 36
; Occupancy: 8
; WaveLimiterHint : 1
; COMPUTE_PGM_RSRC2:SCRATCH_EN: 0
; COMPUTE_PGM_RSRC2:USER_SGPR: 2
; COMPUTE_PGM_RSRC2:TRAP_HANDLER: 0
; COMPUTE_PGM_RSRC2:TGID_X_EN: 1
; COMPUTE_PGM_RSRC2:TGID_Y_EN: 0
; COMPUTE_PGM_RSRC2:TGID_Z_EN: 0
; COMPUTE_PGM_RSRC2:TIDIG_COMP_CNT: 0
; COMPUTE_PGM_RSRC3_GFX90A:ACCUM_OFFSET: 8
; COMPUTE_PGM_RSRC3_GFX90A:TG_SPLIT: 0
	.text
	.p2alignl 6, 3212836864
	.fill 256, 4, 3212836864
	.type	__hip_cuid_3a74a5dc46a8ce9,@object ; @__hip_cuid_3a74a5dc46a8ce9
	.section	.bss,"aw",@nobits
	.globl	__hip_cuid_3a74a5dc46a8ce9
__hip_cuid_3a74a5dc46a8ce9:
	.byte	0                               ; 0x0
	.size	__hip_cuid_3a74a5dc46a8ce9, 1

	.ident	"AMD clang version 19.0.0git (https://github.com/RadeonOpenCompute/llvm-project roc-6.4.0 25133 c7fe45cf4b819c5991fe208aaa96edf142730f1d)"
	.section	".note.GNU-stack","",@progbits
	.addrsig
	.addrsig_sym __hip_cuid_3a74a5dc46a8ce9
	.amdgpu_metadata
---
amdhsa.kernels:
  - .agpr_count:     0
    .args:
      - .actual_access:  read_only
        .address_space:  global
        .offset:         0
        .size:           8
        .value_kind:     global_buffer
      - .actual_access:  read_only
        .address_space:  global
        .offset:         8
        .size:           8
        .value_kind:     global_buffer
      - .actual_access:  read_only
        .address_space:  global
        .offset:         16
        .size:           8
        .value_kind:     global_buffer
      - .actual_access:  read_only
        .address_space:  global
        .offset:         24
        .size:           8
        .value_kind:     global_buffer
      - .actual_access:  read_only
        .address_space:  global
        .offset:         32
        .size:           8
        .value_kind:     global_buffer
      - .offset:         40
        .size:           8
        .value_kind:     by_value
      - .address_space:  global
        .offset:         48
        .size:           8
        .value_kind:     global_buffer
      - .address_space:  global
        .offset:         56
        .size:           8
        .value_kind:     global_buffer
      - .address_space:  global
        .offset:         64
        .size:           8
        .value_kind:     global_buffer
      - .address_space:  global
        .offset:         72
        .size:           8
        .value_kind:     global_buffer
      - .offset:         80
        .size:           4
        .value_kind:     by_value
      - .address_space:  global
        .offset:         88
        .size:           8
        .value_kind:     global_buffer
      - .address_space:  global
        .offset:         96
        .size:           8
        .value_kind:     global_buffer
    .group_segment_fixed_size: 1024
    .kernarg_segment_align: 8
    .kernarg_segment_size: 104
    .language:       OpenCL C
    .language_version:
      - 2
      - 0
    .max_flat_workgroup_size: 64
    .name:           bluestein_single_fwd_len16_dim1_half_op_CI_CI
    .private_segment_fixed_size: 0
    .sgpr_count:     22
    .sgpr_spill_count: 0
    .symbol:         bluestein_single_fwd_len16_dim1_half_op_CI_CI.kd
    .uniform_work_group_size: 1
    .uses_dynamic_stack: false
    .vgpr_count:     36
    .vgpr_spill_count: 0
    .wavefront_size: 64
amdhsa.target:   amdgcn-amd-amdhsa--gfx950
amdhsa.version:
  - 1
  - 2
...

	.end_amdgpu_metadata
